;; amdgpu-corpus repo=ROCm/rocFFT kind=compiled arch=gfx1201 opt=O3
	.text
	.amdgcn_target "amdgcn-amd-amdhsa--gfx1201"
	.amdhsa_code_object_version 6
	.protected	fft_rtc_fwd_len56_factors_7_4_2_wgs_128_tpt_8_dim3_dp_op_CI_CI_unitstride_sbrr_dirReg ; -- Begin function fft_rtc_fwd_len56_factors_7_4_2_wgs_128_tpt_8_dim3_dp_op_CI_CI_unitstride_sbrr_dirReg
	.globl	fft_rtc_fwd_len56_factors_7_4_2_wgs_128_tpt_8_dim3_dp_op_CI_CI_unitstride_sbrr_dirReg
	.p2align	8
	.type	fft_rtc_fwd_len56_factors_7_4_2_wgs_128_tpt_8_dim3_dp_op_CI_CI_unitstride_sbrr_dirReg,@function
fft_rtc_fwd_len56_factors_7_4_2_wgs_128_tpt_8_dim3_dp_op_CI_CI_unitstride_sbrr_dirReg: ; @fft_rtc_fwd_len56_factors_7_4_2_wgs_128_tpt_8_dim3_dp_op_CI_CI_unitstride_sbrr_dirReg
; %bb.0:
	s_load_b64 s[4:5], s[0:1], 0x8
	v_mov_b32_e32 v32, 0
	v_lshrrev_b32_e32 v28, 3, v0
	v_dual_mov_b32 v2, 0 :: v_dual_mov_b32 v33, 0
	s_delay_alu instid0(VALU_DEP_3) | instskip(SKIP_1) | instid1(VALU_DEP_3)
	v_mov_b32_e32 v3, v32
	s_mov_b32 s6, exec_lo
	v_lshl_or_b32 v1, ttmp9, 4, v28
	s_delay_alu instid0(VALU_DEP_3)
	v_mov_b32_e32 v4, v33
	s_wait_kmcnt 0x0
	s_load_b64 s[2:3], s[4:5], 0x8
	s_wait_kmcnt 0x0
	v_cmpx_le_u64_e64 s[2:3], v[1:2]
	s_cbranch_execz .LBB0_2
; %bb.1:
	v_cvt_f32_u32_e32 v3, s2
	s_sub_co_i32 s7, 0, s2
	s_delay_alu instid0(VALU_DEP_1) | instskip(NEXT) | instid1(TRANS32_DEP_1)
	v_rcp_iflag_f32_e32 v3, v3
	v_mul_f32_e32 v3, 0x4f7ffffe, v3
	s_delay_alu instid0(VALU_DEP_1) | instskip(NEXT) | instid1(VALU_DEP_1)
	v_cvt_u32_f32_e32 v3, v3
	v_mul_lo_u32 v4, s7, v3
	s_delay_alu instid0(VALU_DEP_1) | instskip(NEXT) | instid1(VALU_DEP_1)
	v_mul_hi_u32 v4, v3, v4
	v_add_nc_u32_e32 v3, v3, v4
	s_delay_alu instid0(VALU_DEP_1) | instskip(NEXT) | instid1(VALU_DEP_1)
	v_mul_hi_u32 v3, v1, v3
	v_mul_lo_u32 v4, v3, s2
	v_add_nc_u32_e32 v5, 1, v3
	s_delay_alu instid0(VALU_DEP_2) | instskip(NEXT) | instid1(VALU_DEP_1)
	v_sub_nc_u32_e32 v4, v1, v4
	v_subrev_nc_u32_e32 v6, s2, v4
	v_cmp_le_u32_e32 vcc_lo, s2, v4
	s_delay_alu instid0(VALU_DEP_2) | instskip(NEXT) | instid1(VALU_DEP_1)
	v_dual_cndmask_b32 v4, v4, v6 :: v_dual_cndmask_b32 v3, v3, v5
	v_cmp_le_u32_e32 vcc_lo, s2, v4
	s_delay_alu instid0(VALU_DEP_2) | instskip(SKIP_1) | instid1(VALU_DEP_1)
	v_dual_mov_b32 v4, v2 :: v_dual_add_nc_u32 v5, 1, v3
	s_wait_alu 0xfffd
	v_cndmask_b32_e32 v3, v3, v5, vcc_lo
.LBB0_2:
	s_or_b32 exec_lo, exec_lo, s6
	s_load_b64 s[8:9], s[4:5], 0x10
	s_mov_b32 s4, exec_lo
	s_wait_kmcnt 0x0
	v_cmpx_le_u64_e64 s[8:9], v[3:4]
	s_cbranch_execz .LBB0_4
; %bb.3:
	v_cvt_f32_u32_e32 v2, s8
	s_sub_co_i32 s5, 0, s8
	v_mov_b32_e32 v33, 0
	s_delay_alu instid0(VALU_DEP_2) | instskip(NEXT) | instid1(TRANS32_DEP_1)
	v_rcp_iflag_f32_e32 v2, v2
	v_mul_f32_e32 v2, 0x4f7ffffe, v2
	s_delay_alu instid0(VALU_DEP_1) | instskip(NEXT) | instid1(VALU_DEP_1)
	v_cvt_u32_f32_e32 v2, v2
	v_mul_lo_u32 v5, s5, v2
	s_delay_alu instid0(VALU_DEP_1) | instskip(NEXT) | instid1(VALU_DEP_1)
	v_mul_hi_u32 v5, v2, v5
	v_add_nc_u32_e32 v2, v2, v5
	s_delay_alu instid0(VALU_DEP_1) | instskip(NEXT) | instid1(VALU_DEP_1)
	v_mul_hi_u32 v2, v3, v2
	v_mul_lo_u32 v5, v2, s8
	v_add_nc_u32_e32 v6, 1, v2
	s_delay_alu instid0(VALU_DEP_2) | instskip(NEXT) | instid1(VALU_DEP_1)
	v_sub_nc_u32_e32 v5, v3, v5
	v_subrev_nc_u32_e32 v7, s8, v5
	v_cmp_le_u32_e32 vcc_lo, s8, v5
	s_wait_alu 0xfffd
	s_delay_alu instid0(VALU_DEP_2) | instskip(NEXT) | instid1(VALU_DEP_1)
	v_dual_cndmask_b32 v5, v5, v7 :: v_dual_cndmask_b32 v2, v2, v6
	v_cmp_le_u32_e32 vcc_lo, s8, v5
	s_delay_alu instid0(VALU_DEP_2) | instskip(SKIP_1) | instid1(VALU_DEP_1)
	v_add_nc_u32_e32 v6, 1, v2
	s_wait_alu 0xfffd
	v_cndmask_b32_e32 v32, v2, v6, vcc_lo
.LBB0_4:
	s_or_b32 exec_lo, exec_lo, s4
	v_mad_co_u64_u32 v[5:6], null, v3, s2, 0
	s_delay_alu instid0(VALU_DEP_2) | instskip(SKIP_1) | instid1(VALU_DEP_2)
	v_mad_co_u64_u32 v[7:8], null, v32, s8, 0
	s_load_b128 s[4:7], s[0:1], 0x18
                                        ; implicit-def: $vgpr35
	v_dual_mov_b32 v2, v6 :: v_dual_and_b32 v37, 7, v0
	s_delay_alu instid0(VALU_DEP_2) | instskip(NEXT) | instid1(VALU_DEP_2)
	v_mov_b32_e32 v6, v8
	v_mad_co_u64_u32 v[8:9], null, v3, s3, v[2:3]
	s_delay_alu instid0(VALU_DEP_2) | instskip(SKIP_1) | instid1(VALU_DEP_3)
	v_mad_co_u64_u32 v[9:10], null, v32, s9, v[6:7]
	v_sub_co_u32 v38, s3, v1, v5
	v_mov_b32_e32 v2, v8
	s_delay_alu instid0(VALU_DEP_3)
	v_mov_b32_e32 v6, v9
	s_wait_kmcnt 0x0
	v_cmp_gt_u64_e32 vcc_lo, s[6:7], v[32:33]
	v_cmp_le_u64_e64 s2, s[6:7], v[32:33]
	s_wait_alu 0xf1ff
	v_sub_co_ci_u32_e64 v39, s3, 0, v2, s3
	v_sub_co_u32 v40, s3, v3, v7
	s_wait_alu 0xf1ff
	v_sub_co_ci_u32_e64 v41, s3, v4, v6, s3
                                        ; implicit-def: $vgpr33
	s_and_saveexec_b32 s3, s2
	s_wait_alu 0xfffe
	s_xor_b32 s2, exec_lo, s3
; %bb.5:
	v_and_b32_e32 v33, 7, v0
                                        ; implicit-def: $vgpr37
	s_delay_alu instid0(VALU_DEP_1)
	v_or_b32_e32 v35, 8, v33
; %bb.6:
	s_wait_alu 0xfffe
	s_or_saveexec_b32 s3, s2
	s_load_b64 s[8:9], s[0:1], 0x0
                                        ; implicit-def: $vgpr6_vgpr7
                                        ; implicit-def: $vgpr10_vgpr11
                                        ; implicit-def: $vgpr22_vgpr23
                                        ; implicit-def: $vgpr26_vgpr27
                                        ; implicit-def: $vgpr18_vgpr19
                                        ; implicit-def: $vgpr14_vgpr15
                                        ; implicit-def: $vgpr2_vgpr3
	s_xor_b32 exec_lo, exec_lo, s3
	s_cbranch_execz .LBB0_8
; %bb.7:
	s_load_b64 s[6:7], s[0:1], 0x10
	v_or_b32_e32 v35, 8, v37
	s_wait_kmcnt 0x0
	s_clause 0x1
	s_load_b64 s[10:11], s[6:7], 0x18
	s_load_b128 s[12:15], s[6:7], 0x8
	s_load_b64 s[6:7], s[0:1], 0x50
	v_mov_b32_e32 v33, v37
	s_wait_kmcnt 0x0
	v_mad_co_u64_u32 v[0:1], null, s10, v32, 0
	v_mul_lo_u32 v6, s15, v40
	v_mul_lo_u32 v7, s14, v41
	;; [unrolled: 1-line block ×4, first 2 shown]
	v_mad_co_u64_u32 v[4:5], null, s12, v38, 0
	v_mad_co_u64_u32 v[1:2], null, s11, v32, v[1:2]
	v_mad_co_u64_u32 v[2:3], null, s14, v40, 0
	s_delay_alu instid0(VALU_DEP_3) | instskip(NEXT) | instid1(VALU_DEP_3)
	v_add3_u32 v5, v5, v9, v8
	v_lshlrev_b64_e32 v[0:1], 4, v[0:1]
	s_delay_alu instid0(VALU_DEP_3) | instskip(NEXT) | instid1(VALU_DEP_2)
	v_add3_u32 v3, v3, v7, v6
	v_add_co_u32 v6, s2, s6, v0
	s_delay_alu instid0(VALU_DEP_2) | instskip(SKIP_1) | instid1(VALU_DEP_4)
	v_lshlrev_b64_e32 v[2:3], 4, v[2:3]
	s_wait_alu 0xf1ff
	v_add_co_ci_u32_e64 v7, s2, s7, v1, s2
	v_lshlrev_b64_e32 v[0:1], 4, v[4:5]
	v_lshlrev_b32_e32 v4, 4, v37
	s_delay_alu instid0(VALU_DEP_4) | instskip(SKIP_2) | instid1(VALU_DEP_2)
	v_add_co_u32 v2, s2, v6, v2
	s_wait_alu 0xf1ff
	v_add_co_ci_u32_e64 v3, s2, v7, v3, s2
	v_add_co_u32 v0, s2, v2, v0
	s_wait_alu 0xf1ff
	s_delay_alu instid0(VALU_DEP_2) | instskip(NEXT) | instid1(VALU_DEP_2)
	v_add_co_ci_u32_e64 v1, s2, v3, v1, s2
	v_add_co_u32 v24, s2, v0, v4
	s_wait_alu 0xf1ff
	s_delay_alu instid0(VALU_DEP_2)
	v_add_co_ci_u32_e64 v25, s2, 0, v1, s2
	s_clause 0x6
	global_load_b128 v[0:3], v[24:25], off
	global_load_b128 v[4:7], v[24:25], off offset:128
	global_load_b128 v[8:11], v[24:25], off offset:256
	;; [unrolled: 1-line block ×6, first 2 shown]
.LBB0_8:
	s_or_b32 exec_lo, exec_lo, s3
	s_wait_loadcnt 0x0
	v_add_f64_e32 v[29:30], v[4:5], v[24:25]
	v_add_f64_e32 v[42:43], v[6:7], v[26:27]
	;; [unrolled: 1-line block ×6, first 2 shown]
	v_add_f64_e64 v[8:9], v[8:9], -v[20:21]
	v_add_f64_e64 v[10:11], v[10:11], -v[22:23]
	v_add_f64_e64 v[12:13], v[16:17], -v[12:13]
	v_add_f64_e64 v[14:15], v[18:19], -v[14:15]
	v_add_f64_e64 v[4:5], v[4:5], -v[24:25]
	v_add_f64_e64 v[6:7], v[6:7], -v[26:27]
	s_mov_b32 s2, 0x36b3c0b5
	s_mov_b32 s6, 0xe976ee23
	;; [unrolled: 1-line block ×10, first 2 shown]
	v_mul_u32_u24_e32 v28, 56, v28
	v_add_f64_e32 v[16:17], v[44:45], v[29:30]
	v_add_f64_e32 v[18:19], v[46:47], v[42:43]
	v_add_f64_e64 v[20:21], v[48:49], -v[44:45]
	v_add_f64_e64 v[22:23], v[50:51], -v[46:47]
	v_add_f64_e64 v[24:25], v[12:13], -v[8:9]
	v_add_f64_e64 v[26:27], v[14:15], -v[10:11]
	v_add_f64_e64 v[52:53], v[8:9], -v[4:5]
	v_add_f64_e64 v[54:55], v[10:11], -v[6:7]
	v_add_f64_e32 v[8:9], v[8:9], v[12:13]
	v_add_f64_e32 v[10:11], v[10:11], v[14:15]
	;; [unrolled: 1-line block ×4, first 2 shown]
	v_add_f64_e64 v[48:49], v[29:30], -v[48:49]
	v_add_f64_e64 v[50:51], v[42:43], -v[50:51]
	s_wait_alu 0xfffe
	v_mul_f64_e32 v[20:21], s[2:3], v[20:21]
	v_mul_f64_e32 v[22:23], s[2:3], v[22:23]
	;; [unrolled: 1-line block ×4, first 2 shown]
	s_mov_b32 s2, 0x429ad128
	s_mov_b32 s6, 0x37e14327
	v_add_f64_e64 v[29:30], v[44:45], -v[29:30]
	v_add_f64_e64 v[42:43], v[46:47], -v[42:43]
	;; [unrolled: 1-line block ×4, first 2 shown]
	s_mov_b32 s3, 0x3febfeb5
	s_mov_b32 s7, 0x3fe948f6
	s_wait_alu 0xfffe
	v_mul_f64_e32 v[56:57], s[2:3], v[52:53]
	v_mul_f64_e32 v[58:59], s[2:3], v[54:55]
	v_add_f64_e32 v[4:5], v[4:5], v[8:9]
	v_add_f64_e32 v[6:7], v[6:7], v[10:11]
	;; [unrolled: 1-line block ×4, first 2 shown]
	v_mul_f64_e32 v[0:1], s[6:7], v[48:49]
	v_mul_f64_e32 v[2:3], s[6:7], v[50:51]
	v_fma_f64 v[8:9], v[48:49], s[6:7], v[20:21]
	v_fma_f64 v[10:11], v[50:51], s[6:7], v[22:23]
	v_fma_f64 v[20:21], v[29:30], s[12:13], -v[20:21]
	v_fma_f64 v[22:23], v[42:43], s[12:13], -v[22:23]
	s_mov_b32 s13, 0xbfe77f67
	v_fma_f64 v[48:49], v[44:45], s[14:15], v[24:25]
	v_fma_f64 v[50:51], v[46:47], s[14:15], v[26:27]
	s_mov_b32 s15, 0xbfd5d0dc
	v_fma_f64 v[24:25], v[52:53], s[2:3], -v[24:25]
	v_fma_f64 v[26:27], v[54:55], s[2:3], -v[26:27]
	s_wait_alu 0xfffe
	v_fma_f64 v[44:45], v[44:45], s[14:15], -v[56:57]
	v_fma_f64 v[46:47], v[46:47], s[14:15], -v[58:59]
	s_mov_b32 s2, 0x37c3f68c
	s_mov_b32 s3, 0x3fdc38aa
	v_fma_f64 v[16:17], v[16:17], s[10:11], v[12:13]
	v_fma_f64 v[18:19], v[18:19], s[10:11], v[14:15]
	v_fma_f64 v[0:1], v[29:30], s[12:13], -v[0:1]
	v_fma_f64 v[2:3], v[42:43], s[12:13], -v[2:3]
	s_clause 0x1
	s_load_b64 s[10:11], s[4:5], 0x8
	s_load_b128 s[4:7], s[4:5], 0x10
	v_fma_f64 v[29:30], v[4:5], s[2:3], v[48:49]
	v_fma_f64 v[42:43], v[6:7], s[2:3], v[50:51]
	;; [unrolled: 1-line block ×6, first 2 shown]
	v_cmp_gt_u32_e64 s2, 6, v33
	v_add_f64_e32 v[8:9], v[16:17], v[8:9]
	v_add_f64_e32 v[10:11], v[18:19], v[10:11]
	;; [unrolled: 1-line block ×7, first 2 shown]
	v_add_f64_e64 v[18:19], v[10:11], -v[29:30]
	v_add_f64_e32 v[20:21], v[4:5], v[6:7]
	v_add_f64_e64 v[22:23], v[46:47], -v[44:45]
	v_add_f64_e64 v[24:25], v[0:1], -v[50:51]
	v_add_f64_e32 v[26:27], v[2:3], v[48:49]
	v_add_f64_e32 v[0:1], v[50:51], v[0:1]
	v_add_f64_e64 v[2:3], v[2:3], -v[48:49]
	v_add_f64_e64 v[4:5], v[6:7], -v[4:5]
	v_add_f64_e32 v[6:7], v[46:47], v[44:45]
	v_add_f64_e64 v[8:9], v[8:9], -v[42:43]
	v_add_f64_e32 v[10:11], v[10:11], v[29:30]
	v_lshl_add_u32 v29, v28, 4, 0
	v_lshlrev_b32_e32 v42, 4, v35
	v_lshlrev_b32_e32 v43, 4, v28
	s_delay_alu instid0(VALU_DEP_3)
	v_mad_u32_u24 v30, 0x70, v33, v29
	v_lshl_add_u32 v36, v33, 4, v29
	ds_store_b128 v30, v[12:15]
	ds_store_b128 v30, v[16:19] offset:16
	ds_store_b128 v30, v[20:23] offset:32
	;; [unrolled: 1-line block ×6, first 2 shown]
	v_mad_i32_i24 v34, 0xffffffa0, v33, v30
	global_wb scope:SCOPE_SE
	s_wait_dscnt 0x0
	s_wait_kmcnt 0x0
	s_barrier_signal -1
	s_barrier_wait -1
	global_inv scope:SCOPE_SE
	ds_load_b128 v[12:15], v36
	ds_load_b128 v[24:27], v34 offset:224
	ds_load_b128 v[20:23], v34 offset:448
	;; [unrolled: 1-line block ×3, first 2 shown]
                                        ; implicit-def: $vgpr30_vgpr31
	s_and_saveexec_b32 s3, s2
	s_cbranch_execz .LBB0_10
; %bb.9:
	v_add3_u32 v0, 0, v42, v43
	ds_load_b128 v[4:7], v34 offset:352
	ds_load_b128 v[8:11], v34 offset:576
	ds_load_b128 v[0:3], v0
	ds_load_b128 v[28:31], v34 offset:800
.LBB0_10:
	s_wait_alu 0xfffe
	s_or_b32 exec_lo, exec_lo, s3
	v_and_b32_e32 v44, 0xff, v35
	v_cmp_eq_u32_e64 s3, 7, v33
	s_delay_alu instid0(VALU_DEP_2) | instskip(SKIP_1) | instid1(VALU_DEP_2)
	v_mul_lo_u16 v44, v44, 37
	s_wait_alu 0xf1ff
	v_cndmask_b32_e64 v75, v33, 0, s3
	s_delay_alu instid0(VALU_DEP_2) | instskip(NEXT) | instid1(VALU_DEP_2)
	v_lshrrev_b16 v44, 8, v44
	v_mul_u32_u24_e32 v45, 3, v75
	s_delay_alu instid0(VALU_DEP_2) | instskip(NEXT) | instid1(VALU_DEP_2)
	v_sub_nc_u16 v46, v35, v44
	v_lshlrev_b32_e32 v53, 4, v45
	s_delay_alu instid0(VALU_DEP_2)
	v_lshrrev_b16 v54, 1, v46
	s_clause 0x1
	global_load_b128 v[45:48], v53, s[8:9]
	global_load_b128 v[49:52], v53, s[8:9] offset:16
	v_and_b32_e32 v57, 0x7f, v54
	global_load_b128 v[53:56], v53, s[8:9] offset:32
	v_add_nc_u16 v44, v57, v44
	s_delay_alu instid0(VALU_DEP_1) | instskip(NEXT) | instid1(VALU_DEP_1)
	v_lshrrev_b16 v44, 2, v44
	v_mul_lo_u16 v44, v44, 7
	s_delay_alu instid0(VALU_DEP_1) | instskip(NEXT) | instid1(VALU_DEP_1)
	v_sub_nc_u16 v44, v35, v44
	v_and_b32_e32 v44, 0xff, v44
	s_delay_alu instid0(VALU_DEP_1) | instskip(NEXT) | instid1(VALU_DEP_1)
	v_mul_u32_u24_e32 v57, 3, v44
	v_lshlrev_b32_e32 v65, 4, v57
	s_clause 0x2
	global_load_b128 v[57:60], v65, s[8:9]
	global_load_b128 v[61:64], v65, s[8:9] offset:16
	global_load_b128 v[65:68], v65, s[8:9] offset:32
	global_wb scope:SCOPE_SE
	s_wait_loadcnt_dscnt 0x0
	s_barrier_signal -1
	s_barrier_wait -1
	global_inv scope:SCOPE_SE
	v_mul_f64_e32 v[69:70], v[26:27], v[47:48]
	v_mul_f64_e32 v[47:48], v[24:25], v[47:48]
	;; [unrolled: 1-line block ×6, first 2 shown]
	v_fma_f64 v[24:25], v[24:25], v[45:46], -v[69:70]
	v_fma_f64 v[26:27], v[26:27], v[45:46], v[47:48]
	v_fma_f64 v[20:21], v[20:21], v[49:50], -v[71:72]
	v_fma_f64 v[22:23], v[22:23], v[49:50], v[51:52]
	v_mul_f64_e32 v[45:46], v[6:7], v[59:60]
	v_fma_f64 v[16:17], v[16:17], v[53:54], -v[73:74]
	v_fma_f64 v[18:19], v[18:19], v[53:54], v[55:56]
	v_mul_f64_e32 v[47:48], v[4:5], v[59:60]
	v_mul_f64_e32 v[49:50], v[10:11], v[63:64]
	;; [unrolled: 1-line block ×5, first 2 shown]
	v_add_f64_e64 v[59:60], v[12:13], -v[20:21]
	v_add_f64_e64 v[63:64], v[14:15], -v[22:23]
	v_fma_f64 v[4:5], v[4:5], v[57:58], -v[45:46]
	v_add_f64_e64 v[20:21], v[24:25], -v[16:17]
	v_add_f64_e64 v[16:17], v[26:27], -v[18:19]
	v_fma_f64 v[6:7], v[6:7], v[57:58], v[47:48]
	v_fma_f64 v[8:9], v[8:9], v[61:62], -v[49:50]
	v_fma_f64 v[10:11], v[10:11], v[61:62], v[51:52]
	v_fma_f64 v[18:19], v[28:29], v[65:66], -v[53:54]
	v_fma_f64 v[22:23], v[30:31], v[65:66], v[55:56]
	v_fma_f64 v[28:29], v[12:13], 2.0, -v[59:60]
	v_fma_f64 v[30:31], v[14:15], 2.0, -v[63:64]
	;; [unrolled: 1-line block ×4, first 2 shown]
	v_add_f64_e64 v[16:17], v[59:60], -v[16:17]
	v_add_f64_e64 v[8:9], v[0:1], -v[8:9]
	;; [unrolled: 1-line block ×5, first 2 shown]
	v_add_f64_e32 v[18:19], v[63:64], v[20:21]
	v_add_f64_e64 v[20:21], v[28:29], -v[14:15]
	v_add_f64_e64 v[22:23], v[30:31], -v[24:25]
	v_fma_f64 v[24:25], v[59:60], 2.0, -v[16:17]
	v_fma_f64 v[10:11], v[0:1], 2.0, -v[8:9]
	;; [unrolled: 1-line block ×5, first 2 shown]
	v_add_f64_e64 v[4:5], v[8:9], -v[47:48]
	v_add_f64_e32 v[6:7], v[12:13], v[45:46]
	v_fma_f64 v[26:27], v[63:64], 2.0, -v[18:19]
	v_cndmask_b32_e64 v45, 0, 0x1c0, s3
	v_lshlrev_b32_e32 v46, 4, v75
	s_delay_alu instid0(VALU_DEP_2) | instskip(NEXT) | instid1(VALU_DEP_1)
	v_add_nc_u32_e32 v45, 0, v45
	v_add3_u32 v45, v45, v46, v43
	v_fma_f64 v[28:29], v[28:29], 2.0, -v[20:21]
	v_fma_f64 v[30:31], v[30:31], 2.0, -v[22:23]
	ds_store_b128 v45, v[28:31]
	ds_store_b128 v45, v[24:27] offset:112
	ds_store_b128 v45, v[20:23] offset:224
	;; [unrolled: 1-line block ×3, first 2 shown]
	v_add_f64_e64 v[0:1], v[10:11], -v[0:1]
	v_add_f64_e64 v[2:3], v[14:15], -v[2:3]
	s_and_saveexec_b32 s3, s2
	s_cbranch_execz .LBB0_12
; %bb.11:
	s_delay_alu instid0(VALU_DEP_1) | instskip(NEXT) | instid1(VALU_DEP_3)
	v_fma_f64 v[16:17], v[14:15], 2.0, -v[2:3]
	v_fma_f64 v[14:15], v[10:11], 2.0, -v[0:1]
	;; [unrolled: 1-line block ×4, first 2 shown]
	v_lshlrev_b32_e32 v8, 4, v44
	s_delay_alu instid0(VALU_DEP_1)
	v_add3_u32 v8, 0, v8, v43
	ds_store_b128 v8, v[14:17] offset:448
	ds_store_b128 v8, v[10:13] offset:560
	;; [unrolled: 1-line block ×4, first 2 shown]
.LBB0_12:
	s_wait_alu 0xfffe
	s_or_b32 exec_lo, exec_lo, s3
	v_add3_u32 v16, 0, v42, v43
	global_wb scope:SCOPE_SE
	s_wait_dscnt 0x0
	s_barrier_signal -1
	s_barrier_wait -1
	global_inv scope:SCOPE_SE
	ds_load_b128 v[20:23], v34 offset:448
	ds_load_b128 v[24:27], v34 offset:576
	ds_load_b128 v[12:15], v36
	ds_load_b128 v[8:11], v34 offset:256
	ds_load_b128 v[16:19], v16
	ds_load_b128 v[28:31], v34 offset:704
	s_mov_b32 s3, exec_lo
	v_cmpx_gt_u32_e32 4, v33
	s_cbranch_execz .LBB0_14
; %bb.13:
	ds_load_b128 v[0:3], v34 offset:384
	ds_load_b128 v[4:7], v34 offset:832
.LBB0_14:
	s_wait_alu 0xfffe
	s_or_b32 exec_lo, exec_lo, s3
	s_and_saveexec_b32 s2, vcc_lo
	s_cbranch_execz .LBB0_17
; %bb.15:
	v_mov_b32_e32 v34, 0
	v_lshrrev_b32_e32 v59, 2, v37
	s_load_b64 s[0:1], s[0:1], 0x58
	s_delay_alu instid0(VALU_DEP_2) | instskip(SKIP_1) | instid1(VALU_DEP_2)
	v_mov_b32_e32 v36, v34
	v_lshlrev_b64_e32 v[42:43], 4, v[33:34]
	v_lshlrev_b64_e32 v[35:36], 4, v[35:36]
	s_delay_alu instid0(VALU_DEP_2) | instskip(SKIP_1) | instid1(VALU_DEP_3)
	v_add_co_u32 v46, vcc_lo, s8, v42
	s_wait_alu 0xfffd
	v_add_co_ci_u32_e32 v47, vcc_lo, s9, v43, vcc_lo
	s_delay_alu instid0(VALU_DEP_3)
	v_add_co_u32 v35, vcc_lo, s8, v35
	s_wait_alu 0xfffd
	v_add_co_ci_u32_e32 v36, vcc_lo, s9, v36, vcc_lo
	s_clause 0x2
	global_load_b128 v[42:45], v[46:47], off offset:592
	global_load_b128 v[46:49], v[46:47], off offset:336
	;; [unrolled: 1-line block ×3, first 2 shown]
	s_wait_loadcnt_dscnt 0x200
	v_mul_f64_e32 v[35:36], v[30:31], v[42:43]
	s_wait_loadcnt 0x1
	v_mul_f64_e32 v[54:55], v[22:23], v[46:47]
	v_mul_f64_e32 v[22:23], v[22:23], v[48:49]
	s_wait_loadcnt 0x0
	v_mul_f64_e32 v[56:57], v[26:27], v[50:51]
	v_mul_f64_e32 v[26:27], v[26:27], v[52:53]
	;; [unrolled: 1-line block ×3, first 2 shown]
	v_fma_f64 v[35:36], v[28:29], v[44:45], v[35:36]
	v_fma_f64 v[44:45], v[20:21], v[48:49], v[54:55]
	v_fma_f64 v[21:22], v[20:21], v[46:47], -v[22:23]
	v_fma_f64 v[46:47], v[24:25], v[52:53], v[56:57]
	v_fma_f64 v[48:49], v[24:25], v[50:51], -v[26:27]
	v_fma_f64 v[29:30], v[28:29], v[42:43], -v[30:31]
	v_mad_co_u64_u32 v[50:51], null, s6, v32, 0
	v_mul_lo_u32 v31, s5, v40
	v_mul_lo_u32 v54, s4, v41
	v_mad_co_u64_u32 v[42:43], null, s4, v40, 0
	v_mul_lo_u32 v55, s11, v38
	v_mul_lo_u32 v56, s10, v39
	v_mad_co_u64_u32 v[52:53], null, s10, v38, 0
	v_add_nc_u32_e32 v57, 8, v37
	v_add_nc_u32_e32 v20, 24, v37
	v_add3_u32 v43, v43, v54, v31
	s_delay_alu instid0(VALU_DEP_3) | instskip(SKIP_1) | instid1(VALU_DEP_3)
	v_lshrrev_b32_e32 v60, 2, v57
	v_add3_u32 v53, v53, v56, v55
	v_lshlrev_b64_e32 v[42:43], 4, v[42:43]
	v_cmp_gt_u32_e32 vcc_lo, 28, v20
	v_add_f64_e64 v[23:24], v[10:11], -v[35:36]
	v_add_f64_e64 v[27:28], v[14:15], -v[44:45]
	;; [unrolled: 1-line block ×6, first 2 shown]
	v_mov_b32_e32 v29, v51
	v_mul_hi_u32 v35, 0x24924925, v59
	v_mul_hi_u32 v47, 0x24924925, v60
	v_lshlrev_b64_e32 v[45:46], 4, v[52:53]
	s_delay_alu instid0(VALU_DEP_4) | instskip(SKIP_3) | instid1(VALU_DEP_4)
	v_mad_co_u64_u32 v[29:30], null, s7, v32, v[29:30]
	v_add_nc_u32_e32 v58, 16, v37
	v_mul_lo_u32 v30, v35, 28
	v_mul_lo_u32 v31, v47, 28
	v_mov_b32_e32 v51, v29
	s_delay_alu instid0(VALU_DEP_4) | instskip(NEXT) | instid1(VALU_DEP_4)
	v_lshrrev_b32_e32 v61, 2, v58
	v_sub_nc_u32_e32 v35, v37, v30
	s_delay_alu instid0(VALU_DEP_4) | instskip(NEXT) | instid1(VALU_DEP_3)
	v_sub_nc_u32_e32 v29, v57, v31
	v_mul_hi_u32 v49, 0x24924925, v61
	v_lshlrev_b64_e32 v[30:31], 4, v[50:51]
	s_delay_alu instid0(VALU_DEP_4) | instskip(SKIP_1) | instid1(VALU_DEP_2)
	v_dual_mov_b32 v36, v34 :: v_dual_lshlrev_b32 v51, 4, v35
	s_wait_kmcnt 0x0
	v_add_co_u32 v35, s0, s0, v30
	s_delay_alu instid0(VALU_DEP_4)
	v_mul_lo_u32 v32, v49, 28
	v_mad_co_u64_u32 v[47:48], null, v47, 56, v[29:30]
	s_wait_alu 0xf1ff
	v_add_co_ci_u32_e64 v52, s0, s1, v31, s0
	v_fma_f64 v[14:15], v[14:15], 2.0, -v[27:28]
	v_fma_f64 v[12:13], v[12:13], 2.0, -v[25:26]
	v_fma_f64 v[18:19], v[18:19], 2.0, -v[40:41]
	v_sub_nc_u32_e32 v32, v58, v32
	v_fma_f64 v[16:17], v[16:17], 2.0, -v[38:39]
	v_fma_f64 v[29:30], v[8:9], 2.0, -v[21:22]
	v_add_co_u32 v8, s0, v35, v42
	s_delay_alu instid0(VALU_DEP_4)
	v_mad_co_u64_u32 v[49:50], null, v49, 56, v[32:33]
	v_fma_f64 v[31:32], v[10:11], 2.0, -v[23:24]
	v_mov_b32_e32 v48, v34
	s_wait_alu 0xf1ff
	v_add_co_ci_u32_e64 v9, s0, v52, v43, s0
	v_dual_mov_b32 v44, v34 :: v_dual_add_nc_u32 v35, 28, v47
	v_dual_mov_b32 v50, v34 :: v_dual_add_nc_u32 v43, 28, v49
	v_add_co_u32 v8, s0, v8, v45
	v_lshlrev_b64_e32 v[10:11], 4, v[47:48]
	s_wait_alu 0xf1ff
	v_add_co_ci_u32_e64 v9, s0, v9, v46, s0
	v_lshlrev_b64_e32 v[47:48], 4, v[49:50]
	v_lshlrev_b64_e32 v[42:43], 4, v[43:44]
	v_add_co_u32 v44, s0, v8, v51
	s_wait_alu 0xf1ff
	v_add_co_ci_u32_e64 v45, s0, 0, v9, s0
	v_lshlrev_b64_e32 v[35:36], 4, v[35:36]
	v_add_co_u32 v10, s0, v8, v10
	s_wait_alu 0xf1ff
	v_add_co_ci_u32_e64 v11, s0, v9, v11, s0
	v_add_co_u32 v46, s0, v8, v47
	s_wait_alu 0xf1ff
	v_add_co_ci_u32_e64 v47, s0, v9, v48, s0
	v_add_co_u32 v35, s0, v8, v35
	s_wait_alu 0xf1ff
	v_add_co_ci_u32_e64 v36, s0, v9, v36, s0
	v_add_co_u32 v42, s0, v8, v42
	s_wait_alu 0xf1ff
	v_add_co_ci_u32_e64 v43, s0, v9, v43, s0
	s_clause 0x5
	global_store_b128 v[44:45], v[12:15], off
	global_store_b128 v[44:45], v[25:28], off offset:448
	global_store_b128 v[10:11], v[16:19], off
	global_store_b128 v[35:36], v[38:41], off
	;; [unrolled: 1-line block ×4, first 2 shown]
	s_and_b32 exec_lo, exec_lo, vcc_lo
	s_cbranch_execz .LBB0_17
; %bb.16:
	v_or_b32_e32 v10, 24, v33
	v_add_nc_u32_e32 v11, -4, v33
	v_mov_b32_e32 v21, v34
	s_delay_alu instid0(VALU_DEP_3) | instskip(SKIP_1) | instid1(VALU_DEP_3)
	v_cmp_gt_u32_e32 vcc_lo, 28, v10
	s_wait_alu 0xfffd
	v_cndmask_b32_e32 v33, v11, v10, vcc_lo
	s_delay_alu instid0(VALU_DEP_1) | instskip(SKIP_1) | instid1(VALU_DEP_2)
	v_lshlrev_b64_e32 v[10:11], 4, v[33:34]
	v_add_nc_u32_e32 v33, 52, v37
	v_add_co_u32 v10, vcc_lo, s8, v10
	s_wait_alu 0xfffd
	s_delay_alu instid0(VALU_DEP_3) | instskip(SKIP_4) | instid1(VALU_DEP_2)
	v_add_co_ci_u32_e32 v11, vcc_lo, s9, v11, vcc_lo
	global_load_b128 v[10:13], v[10:11], off offset:336
	s_wait_loadcnt 0x0
	v_mul_f64_e32 v[14:15], v[6:7], v[12:13]
	v_mul_f64_e32 v[12:13], v[4:5], v[12:13]
	v_fma_f64 v[4:5], v[4:5], v[10:11], -v[14:15]
	s_delay_alu instid0(VALU_DEP_2) | instskip(SKIP_2) | instid1(VALU_DEP_2)
	v_fma_f64 v[6:7], v[6:7], v[10:11], v[12:13]
	v_lshlrev_b64_e32 v[10:11], 4, v[20:21]
	v_lshlrev_b64_e32 v[12:13], 4, v[33:34]
	v_add_co_u32 v10, vcc_lo, v8, v10
	s_wait_alu 0xfffd
	s_delay_alu instid0(VALU_DEP_3) | instskip(NEXT) | instid1(VALU_DEP_3)
	v_add_co_ci_u32_e32 v11, vcc_lo, v9, v11, vcc_lo
	v_add_co_u32 v8, vcc_lo, v8, v12
	s_wait_alu 0xfffd
	v_add_co_ci_u32_e32 v9, vcc_lo, v9, v13, vcc_lo
	v_add_f64_e64 v[4:5], v[0:1], -v[4:5]
	v_add_f64_e64 v[6:7], v[2:3], -v[6:7]
	s_delay_alu instid0(VALU_DEP_2) | instskip(NEXT) | instid1(VALU_DEP_2)
	v_fma_f64 v[0:1], v[0:1], 2.0, -v[4:5]
	v_fma_f64 v[2:3], v[2:3], 2.0, -v[6:7]
	s_clause 0x1
	global_store_b128 v[10:11], v[0:3], off
	global_store_b128 v[8:9], v[4:7], off
.LBB0_17:
	s_nop 0
	s_sendmsg sendmsg(MSG_DEALLOC_VGPRS)
	s_endpgm
	.section	.rodata,"a",@progbits
	.p2align	6, 0x0
	.amdhsa_kernel fft_rtc_fwd_len56_factors_7_4_2_wgs_128_tpt_8_dim3_dp_op_CI_CI_unitstride_sbrr_dirReg
		.amdhsa_group_segment_fixed_size 0
		.amdhsa_private_segment_fixed_size 0
		.amdhsa_kernarg_size 96
		.amdhsa_user_sgpr_count 2
		.amdhsa_user_sgpr_dispatch_ptr 0
		.amdhsa_user_sgpr_queue_ptr 0
		.amdhsa_user_sgpr_kernarg_segment_ptr 1
		.amdhsa_user_sgpr_dispatch_id 0
		.amdhsa_user_sgpr_private_segment_size 0
		.amdhsa_wavefront_size32 1
		.amdhsa_uses_dynamic_stack 0
		.amdhsa_enable_private_segment 0
		.amdhsa_system_sgpr_workgroup_id_x 1
		.amdhsa_system_sgpr_workgroup_id_y 0
		.amdhsa_system_sgpr_workgroup_id_z 0
		.amdhsa_system_sgpr_workgroup_info 0
		.amdhsa_system_vgpr_workitem_id 0
		.amdhsa_next_free_vgpr 76
		.amdhsa_next_free_sgpr 16
		.amdhsa_reserve_vcc 1
		.amdhsa_float_round_mode_32 0
		.amdhsa_float_round_mode_16_64 0
		.amdhsa_float_denorm_mode_32 3
		.amdhsa_float_denorm_mode_16_64 3
		.amdhsa_fp16_overflow 0
		.amdhsa_workgroup_processor_mode 1
		.amdhsa_memory_ordered 1
		.amdhsa_forward_progress 0
		.amdhsa_round_robin_scheduling 0
		.amdhsa_exception_fp_ieee_invalid_op 0
		.amdhsa_exception_fp_denorm_src 0
		.amdhsa_exception_fp_ieee_div_zero 0
		.amdhsa_exception_fp_ieee_overflow 0
		.amdhsa_exception_fp_ieee_underflow 0
		.amdhsa_exception_fp_ieee_inexact 0
		.amdhsa_exception_int_div_zero 0
	.end_amdhsa_kernel
	.text
.Lfunc_end0:
	.size	fft_rtc_fwd_len56_factors_7_4_2_wgs_128_tpt_8_dim3_dp_op_CI_CI_unitstride_sbrr_dirReg, .Lfunc_end0-fft_rtc_fwd_len56_factors_7_4_2_wgs_128_tpt_8_dim3_dp_op_CI_CI_unitstride_sbrr_dirReg
                                        ; -- End function
	.section	.AMDGPU.csdata,"",@progbits
; Kernel info:
; codeLenInByte = 3808
; NumSgprs: 18
; NumVgprs: 76
; ScratchSize: 0
; MemoryBound: 1
; FloatMode: 240
; IeeeMode: 1
; LDSByteSize: 0 bytes/workgroup (compile time only)
; SGPRBlocks: 2
; VGPRBlocks: 9
; NumSGPRsForWavesPerEU: 18
; NumVGPRsForWavesPerEU: 76
; Occupancy: 16
; WaveLimiterHint : 1
; COMPUTE_PGM_RSRC2:SCRATCH_EN: 0
; COMPUTE_PGM_RSRC2:USER_SGPR: 2
; COMPUTE_PGM_RSRC2:TRAP_HANDLER: 0
; COMPUTE_PGM_RSRC2:TGID_X_EN: 1
; COMPUTE_PGM_RSRC2:TGID_Y_EN: 0
; COMPUTE_PGM_RSRC2:TGID_Z_EN: 0
; COMPUTE_PGM_RSRC2:TIDIG_COMP_CNT: 0
	.text
	.p2alignl 7, 3214868480
	.fill 96, 4, 3214868480
	.type	__hip_cuid_f3af300e974c125b,@object ; @__hip_cuid_f3af300e974c125b
	.section	.bss,"aw",@nobits
	.globl	__hip_cuid_f3af300e974c125b
__hip_cuid_f3af300e974c125b:
	.byte	0                               ; 0x0
	.size	__hip_cuid_f3af300e974c125b, 1

	.ident	"AMD clang version 19.0.0git (https://github.com/RadeonOpenCompute/llvm-project roc-6.4.0 25133 c7fe45cf4b819c5991fe208aaa96edf142730f1d)"
	.section	".note.GNU-stack","",@progbits
	.addrsig
	.addrsig_sym __hip_cuid_f3af300e974c125b
	.amdgpu_metadata
---
amdhsa.kernels:
  - .args:
      - .actual_access:  read_only
        .address_space:  global
        .offset:         0
        .size:           8
        .value_kind:     global_buffer
      - .actual_access:  read_only
        .address_space:  global
        .offset:         8
        .size:           8
        .value_kind:     global_buffer
      - .actual_access:  read_only
        .address_space:  global
        .offset:         16
        .size:           8
        .value_kind:     global_buffer
      - .actual_access:  read_only
        .address_space:  global
        .offset:         24
        .size:           8
        .value_kind:     global_buffer
      - .offset:         32
        .size:           8
        .value_kind:     by_value
      - .actual_access:  read_only
        .address_space:  global
        .offset:         40
        .size:           8
        .value_kind:     global_buffer
      - .actual_access:  read_only
        .address_space:  global
        .offset:         48
        .size:           8
        .value_kind:     global_buffer
      - .offset:         56
        .size:           4
        .value_kind:     by_value
      - .actual_access:  read_only
        .address_space:  global
        .offset:         64
        .size:           8
        .value_kind:     global_buffer
      - .actual_access:  read_only
        .address_space:  global
        .offset:         72
        .size:           8
        .value_kind:     global_buffer
      - .actual_access:  read_only
        .address_space:  global
        .offset:         80
        .size:           8
        .value_kind:     global_buffer
      - .actual_access:  write_only
        .address_space:  global
        .offset:         88
        .size:           8
        .value_kind:     global_buffer
    .group_segment_fixed_size: 0
    .kernarg_segment_align: 8
    .kernarg_segment_size: 96
    .language:       OpenCL C
    .language_version:
      - 2
      - 0
    .max_flat_workgroup_size: 128
    .name:           fft_rtc_fwd_len56_factors_7_4_2_wgs_128_tpt_8_dim3_dp_op_CI_CI_unitstride_sbrr_dirReg
    .private_segment_fixed_size: 0
    .sgpr_count:     18
    .sgpr_spill_count: 0
    .symbol:         fft_rtc_fwd_len56_factors_7_4_2_wgs_128_tpt_8_dim3_dp_op_CI_CI_unitstride_sbrr_dirReg.kd
    .uniform_work_group_size: 1
    .uses_dynamic_stack: false
    .vgpr_count:     76
    .vgpr_spill_count: 0
    .wavefront_size: 32
    .workgroup_processor_mode: 1
amdhsa.target:   amdgcn-amd-amdhsa--gfx1201
amdhsa.version:
  - 1
  - 2
...

	.end_amdgpu_metadata
